;; amdgpu-corpus repo=ROCm/rocFFT kind=compiled arch=gfx906 opt=O3
	.text
	.amdgcn_target "amdgcn-amd-amdhsa--gfx906"
	.amdhsa_code_object_version 6
	.protected	fft_rtc_back_len1050_factors_2_3_5_5_7_wgs_210_tpt_210_sp_ip_CI_unitstride_sbrr_C2R_dirReg ; -- Begin function fft_rtc_back_len1050_factors_2_3_5_5_7_wgs_210_tpt_210_sp_ip_CI_unitstride_sbrr_C2R_dirReg
	.globl	fft_rtc_back_len1050_factors_2_3_5_5_7_wgs_210_tpt_210_sp_ip_CI_unitstride_sbrr_C2R_dirReg
	.p2align	8
	.type	fft_rtc_back_len1050_factors_2_3_5_5_7_wgs_210_tpt_210_sp_ip_CI_unitstride_sbrr_C2R_dirReg,@function
fft_rtc_back_len1050_factors_2_3_5_5_7_wgs_210_tpt_210_sp_ip_CI_unitstride_sbrr_C2R_dirReg: ; @fft_rtc_back_len1050_factors_2_3_5_5_7_wgs_210_tpt_210_sp_ip_CI_unitstride_sbrr_C2R_dirReg
; %bb.0:
	s_load_dwordx2 s[2:3], s[4:5], 0x50
	s_load_dwordx4 s[8:11], s[4:5], 0x0
	s_load_dwordx2 s[12:13], s[4:5], 0x18
	v_mul_u32_u24_e32 v1, 0x139, v0
	v_add_u32_sdwa v5, s6, v1 dst_sel:DWORD dst_unused:UNUSED_PAD src0_sel:DWORD src1_sel:WORD_1
	v_mov_b32_e32 v3, 0
	s_waitcnt lgkmcnt(0)
	v_cmp_lt_u64_e64 s[0:1], s[10:11], 2
	v_mov_b32_e32 v1, 0
	v_mov_b32_e32 v6, v3
	s_and_b64 vcc, exec, s[0:1]
	v_mov_b32_e32 v2, 0
	s_cbranch_vccnz .LBB0_8
; %bb.1:
	s_load_dwordx2 s[0:1], s[4:5], 0x10
	s_add_u32 s6, s12, 8
	s_addc_u32 s7, s13, 0
	v_mov_b32_e32 v1, 0
	v_mov_b32_e32 v2, 0
	s_waitcnt lgkmcnt(0)
	s_add_u32 s14, s0, 8
	s_addc_u32 s15, s1, 0
	s_mov_b64 s[16:17], 1
.LBB0_2:                                ; =>This Inner Loop Header: Depth=1
	s_load_dwordx2 s[18:19], s[14:15], 0x0
                                        ; implicit-def: $vgpr7_vgpr8
	s_waitcnt lgkmcnt(0)
	v_or_b32_e32 v4, s19, v6
	v_cmp_ne_u64_e32 vcc, 0, v[3:4]
	s_and_saveexec_b64 s[0:1], vcc
	s_xor_b64 s[20:21], exec, s[0:1]
	s_cbranch_execz .LBB0_4
; %bb.3:                                ;   in Loop: Header=BB0_2 Depth=1
	v_cvt_f32_u32_e32 v4, s18
	v_cvt_f32_u32_e32 v7, s19
	s_sub_u32 s0, 0, s18
	s_subb_u32 s1, 0, s19
	v_mac_f32_e32 v4, 0x4f800000, v7
	v_rcp_f32_e32 v4, v4
	v_mul_f32_e32 v4, 0x5f7ffffc, v4
	v_mul_f32_e32 v7, 0x2f800000, v4
	v_trunc_f32_e32 v7, v7
	v_mac_f32_e32 v4, 0xcf800000, v7
	v_cvt_u32_f32_e32 v7, v7
	v_cvt_u32_f32_e32 v4, v4
	v_mul_lo_u32 v8, s0, v7
	v_mul_hi_u32 v9, s0, v4
	v_mul_lo_u32 v11, s1, v4
	v_mul_lo_u32 v10, s0, v4
	v_add_u32_e32 v8, v9, v8
	v_add_u32_e32 v8, v8, v11
	v_mul_hi_u32 v9, v4, v10
	v_mul_lo_u32 v11, v4, v8
	v_mul_hi_u32 v13, v4, v8
	v_mul_hi_u32 v12, v7, v10
	v_mul_lo_u32 v10, v7, v10
	v_mul_hi_u32 v14, v7, v8
	v_add_co_u32_e32 v9, vcc, v9, v11
	v_addc_co_u32_e32 v11, vcc, 0, v13, vcc
	v_mul_lo_u32 v8, v7, v8
	v_add_co_u32_e32 v9, vcc, v9, v10
	v_addc_co_u32_e32 v9, vcc, v11, v12, vcc
	v_addc_co_u32_e32 v10, vcc, 0, v14, vcc
	v_add_co_u32_e32 v8, vcc, v9, v8
	v_addc_co_u32_e32 v9, vcc, 0, v10, vcc
	v_add_co_u32_e32 v4, vcc, v4, v8
	v_addc_co_u32_e32 v7, vcc, v7, v9, vcc
	v_mul_lo_u32 v8, s0, v7
	v_mul_hi_u32 v9, s0, v4
	v_mul_lo_u32 v10, s1, v4
	v_mul_lo_u32 v11, s0, v4
	v_add_u32_e32 v8, v9, v8
	v_add_u32_e32 v8, v8, v10
	v_mul_lo_u32 v12, v4, v8
	v_mul_hi_u32 v13, v4, v11
	v_mul_hi_u32 v14, v4, v8
	;; [unrolled: 1-line block ×3, first 2 shown]
	v_mul_lo_u32 v11, v7, v11
	v_mul_hi_u32 v9, v7, v8
	v_add_co_u32_e32 v12, vcc, v13, v12
	v_addc_co_u32_e32 v13, vcc, 0, v14, vcc
	v_mul_lo_u32 v8, v7, v8
	v_add_co_u32_e32 v11, vcc, v12, v11
	v_addc_co_u32_e32 v10, vcc, v13, v10, vcc
	v_addc_co_u32_e32 v9, vcc, 0, v9, vcc
	v_add_co_u32_e32 v8, vcc, v10, v8
	v_addc_co_u32_e32 v9, vcc, 0, v9, vcc
	v_add_co_u32_e32 v4, vcc, v4, v8
	v_addc_co_u32_e32 v9, vcc, v7, v9, vcc
	v_mad_u64_u32 v[7:8], s[0:1], v5, v9, 0
	v_mul_hi_u32 v10, v5, v4
	v_add_co_u32_e32 v11, vcc, v10, v7
	v_addc_co_u32_e32 v12, vcc, 0, v8, vcc
	v_mad_u64_u32 v[7:8], s[0:1], v6, v4, 0
	v_mad_u64_u32 v[9:10], s[0:1], v6, v9, 0
	v_add_co_u32_e32 v4, vcc, v11, v7
	v_addc_co_u32_e32 v4, vcc, v12, v8, vcc
	v_addc_co_u32_e32 v7, vcc, 0, v10, vcc
	v_add_co_u32_e32 v4, vcc, v4, v9
	v_addc_co_u32_e32 v9, vcc, 0, v7, vcc
	v_mul_lo_u32 v10, s19, v4
	v_mul_lo_u32 v11, s18, v9
	v_mad_u64_u32 v[7:8], s[0:1], s18, v4, 0
	v_add3_u32 v8, v8, v11, v10
	v_sub_u32_e32 v10, v6, v8
	v_mov_b32_e32 v11, s19
	v_sub_co_u32_e32 v7, vcc, v5, v7
	v_subb_co_u32_e64 v10, s[0:1], v10, v11, vcc
	v_subrev_co_u32_e64 v11, s[0:1], s18, v7
	v_subbrev_co_u32_e64 v10, s[0:1], 0, v10, s[0:1]
	v_cmp_le_u32_e64 s[0:1], s19, v10
	v_cndmask_b32_e64 v12, 0, -1, s[0:1]
	v_cmp_le_u32_e64 s[0:1], s18, v11
	v_cndmask_b32_e64 v11, 0, -1, s[0:1]
	v_cmp_eq_u32_e64 s[0:1], s19, v10
	v_cndmask_b32_e64 v10, v12, v11, s[0:1]
	v_add_co_u32_e64 v11, s[0:1], 2, v4
	v_addc_co_u32_e64 v12, s[0:1], 0, v9, s[0:1]
	v_add_co_u32_e64 v13, s[0:1], 1, v4
	v_addc_co_u32_e64 v14, s[0:1], 0, v9, s[0:1]
	v_subb_co_u32_e32 v8, vcc, v6, v8, vcc
	v_cmp_ne_u32_e64 s[0:1], 0, v10
	v_cmp_le_u32_e32 vcc, s19, v8
	v_cndmask_b32_e64 v10, v14, v12, s[0:1]
	v_cndmask_b32_e64 v12, 0, -1, vcc
	v_cmp_le_u32_e32 vcc, s18, v7
	v_cndmask_b32_e64 v7, 0, -1, vcc
	v_cmp_eq_u32_e32 vcc, s19, v8
	v_cndmask_b32_e32 v7, v12, v7, vcc
	v_cmp_ne_u32_e32 vcc, 0, v7
	v_cndmask_b32_e64 v7, v13, v11, s[0:1]
	v_cndmask_b32_e32 v8, v9, v10, vcc
	v_cndmask_b32_e32 v7, v4, v7, vcc
.LBB0_4:                                ;   in Loop: Header=BB0_2 Depth=1
	s_andn2_saveexec_b64 s[0:1], s[20:21]
	s_cbranch_execz .LBB0_6
; %bb.5:                                ;   in Loop: Header=BB0_2 Depth=1
	v_cvt_f32_u32_e32 v4, s18
	s_sub_i32 s20, 0, s18
	v_rcp_iflag_f32_e32 v4, v4
	v_mul_f32_e32 v4, 0x4f7ffffe, v4
	v_cvt_u32_f32_e32 v4, v4
	v_mul_lo_u32 v7, s20, v4
	v_mul_hi_u32 v7, v4, v7
	v_add_u32_e32 v4, v4, v7
	v_mul_hi_u32 v4, v5, v4
	v_mul_lo_u32 v7, v4, s18
	v_add_u32_e32 v8, 1, v4
	v_sub_u32_e32 v7, v5, v7
	v_subrev_u32_e32 v9, s18, v7
	v_cmp_le_u32_e32 vcc, s18, v7
	v_cndmask_b32_e32 v7, v7, v9, vcc
	v_cndmask_b32_e32 v4, v4, v8, vcc
	v_add_u32_e32 v8, 1, v4
	v_cmp_le_u32_e32 vcc, s18, v7
	v_cndmask_b32_e32 v7, v4, v8, vcc
	v_mov_b32_e32 v8, v3
.LBB0_6:                                ;   in Loop: Header=BB0_2 Depth=1
	s_or_b64 exec, exec, s[0:1]
	v_mul_lo_u32 v4, v8, s18
	v_mul_lo_u32 v11, v7, s19
	v_mad_u64_u32 v[9:10], s[0:1], v7, s18, 0
	s_load_dwordx2 s[0:1], s[6:7], 0x0
	s_add_u32 s16, s16, 1
	v_add3_u32 v4, v10, v11, v4
	v_sub_co_u32_e32 v5, vcc, v5, v9
	v_subb_co_u32_e32 v4, vcc, v6, v4, vcc
	s_waitcnt lgkmcnt(0)
	v_mul_lo_u32 v4, s0, v4
	v_mul_lo_u32 v6, s1, v5
	v_mad_u64_u32 v[1:2], s[0:1], s0, v5, v[1:2]
	s_addc_u32 s17, s17, 0
	s_add_u32 s6, s6, 8
	v_add3_u32 v2, v6, v2, v4
	v_mov_b32_e32 v4, s10
	v_mov_b32_e32 v5, s11
	s_addc_u32 s7, s7, 0
	v_cmp_ge_u64_e32 vcc, s[16:17], v[4:5]
	s_add_u32 s14, s14, 8
	s_addc_u32 s15, s15, 0
	s_cbranch_vccnz .LBB0_9
; %bb.7:                                ;   in Loop: Header=BB0_2 Depth=1
	v_mov_b32_e32 v5, v7
	v_mov_b32_e32 v6, v8
	s_branch .LBB0_2
.LBB0_8:
	v_mov_b32_e32 v8, v6
	v_mov_b32_e32 v7, v5
.LBB0_9:
	s_lshl_b64 s[0:1], s[10:11], 3
	s_add_u32 s0, s12, s0
	s_addc_u32 s1, s13, s1
	s_load_dwordx2 s[6:7], s[0:1], 0x0
	s_load_dwordx2 s[10:11], s[4:5], 0x20
	s_waitcnt lgkmcnt(0)
	v_mad_u64_u32 v[1:2], s[0:1], s6, v7, v[1:2]
	v_mul_lo_u32 v3, s6, v8
	v_mul_lo_u32 v4, s7, v7
	s_mov_b32 s0, 0x1381382
	v_mul_hi_u32 v5, v0, s0
	v_cmp_gt_u64_e64 s[0:1], s[10:11], v[7:8]
	v_add3_u32 v2, v4, v2, v3
	v_lshlrev_b64 v[14:15], 3, v[1:2]
	v_mul_u32_u24_e32 v3, 0xd2, v5
	v_sub_u32_e32 v12, v0, v3
	s_and_saveexec_b64 s[4:5], s[0:1]
	s_cbranch_execz .LBB0_13
; %bb.10:
	v_mov_b32_e32 v13, 0
	v_mov_b32_e32 v0, s3
	v_add_co_u32_e32 v1, vcc, s2, v14
	v_lshlrev_b64 v[2:3], 3, v[12:13]
	v_addc_co_u32_e32 v0, vcc, v0, v15, vcc
	v_add_co_u32_e32 v2, vcc, v1, v2
	v_addc_co_u32_e32 v3, vcc, v0, v3, vcc
	v_add_co_u32_e32 v4, vcc, 0x1000, v2
	v_addc_co_u32_e32 v5, vcc, 0, v3, vcc
	global_load_dwordx2 v[6:7], v[2:3], off
	global_load_dwordx2 v[8:9], v[2:3], off offset:1680
	global_load_dwordx2 v[10:11], v[2:3], off offset:3360
	;; [unrolled: 1-line block ×4, first 2 shown]
	s_movk_i32 s6, 0xd1
	v_lshl_add_u32 v2, v12, 3, 0
	v_cmp_eq_u32_e32 vcc, s6, v12
	v_add_u32_e32 v3, 0xc00, v2
	s_waitcnt vmcnt(3)
	ds_write2_b64 v2, v[6:7], v[8:9] offset1:210
	s_waitcnt vmcnt(1)
	ds_write2_b64 v3, v[10:11], v[16:17] offset0:36 offset1:246
	s_waitcnt vmcnt(0)
	ds_write_b64 v2, v[18:19] offset:6720
	s_and_saveexec_b64 s[6:7], vcc
	s_cbranch_execz .LBB0_12
; %bb.11:
	v_add_co_u32_e32 v1, vcc, 0x2000, v1
	v_addc_co_u32_e32 v2, vcc, 0, v0, vcc
	global_load_dwordx2 v[0:1], v[1:2], off offset:208
	v_mov_b32_e32 v12, 0xd1
	s_waitcnt vmcnt(0)
	ds_write_b64 v13, v[0:1] offset:8400
.LBB0_12:
	s_or_b64 exec, exec, s[6:7]
.LBB0_13:
	s_or_b64 exec, exec, s[4:5]
	v_lshlrev_b32_e32 v16, 3, v12
	v_add_u32_e32 v18, 0, v16
	s_waitcnt lgkmcnt(0)
	s_barrier
	v_sub_u32_e32 v4, 0, v16
	ds_read_b32 v1, v18
	ds_read_b32 v2, v4 offset:8400
	s_add_u32 s6, s8, 0x20c0
	s_addc_u32 s7, s9, 0
	v_cmp_ne_u32_e32 vcc, 0, v12
	s_waitcnt lgkmcnt(0)
	v_add_f32_e32 v0, v2, v1
	v_sub_f32_e32 v1, v1, v2
                                        ; implicit-def: $vgpr2_vgpr3
	s_and_saveexec_b64 s[4:5], vcc
	s_xor_b64 s[4:5], exec, s[4:5]
	s_cbranch_execz .LBB0_15
; %bb.14:
	v_mov_b32_e32 v13, 0
	v_lshlrev_b64 v[2:3], 3, v[12:13]
	v_mov_b32_e32 v5, s7
	v_add_co_u32_e32 v2, vcc, s6, v2
	v_addc_co_u32_e32 v3, vcc, v5, v3, vcc
	global_load_dwordx2 v[2:3], v[2:3], off
	ds_read_b32 v5, v4 offset:8404
	ds_read_b32 v6, v18 offset:4
	s_waitcnt lgkmcnt(0)
	v_add_f32_e32 v9, v5, v6
	v_sub_f32_e32 v5, v6, v5
	s_waitcnt vmcnt(0)
	v_fma_f32 v10, v1, v3, v0
	v_fma_f32 v6, v9, v3, v5
	v_fma_f32 v7, -v1, v3, v0
	v_fma_f32 v8, v9, v3, -v5
	v_fma_f32 v5, -v2, v9, v10
	v_fmac_f32_e32 v6, v1, v2
	v_fmac_f32_e32 v7, v2, v9
	;; [unrolled: 1-line block ×3, first 2 shown]
	v_mov_b32_e32 v2, v12
	ds_write_b64 v18, v[5:6]
	ds_write_b64 v4, v[7:8] offset:8400
	v_mov_b32_e32 v3, v13
                                        ; implicit-def: $vgpr0
.LBB0_15:
	s_andn2_saveexec_b64 s[4:5], s[4:5]
	s_cbranch_execz .LBB0_17
; %bb.16:
	ds_write_b64 v18, v[0:1]
	v_mov_b32_e32 v5, 0
	ds_read_b64 v[0:1], v5 offset:4200
	v_mov_b32_e32 v2, 0
	v_mov_b32_e32 v3, 0
	s_waitcnt lgkmcnt(0)
	v_add_f32_e32 v0, v0, v0
	v_mul_f32_e32 v1, -2.0, v1
	ds_write_b64 v5, v[0:1] offset:4200
.LBB0_17:
	s_or_b64 exec, exec, s[4:5]
	v_lshlrev_b64 v[0:1], 3, v[2:3]
	v_mov_b32_e32 v2, s7
	v_add_co_u32_e32 v0, vcc, s6, v0
	v_addc_co_u32_e32 v1, vcc, v2, v1, vcc
	global_load_dwordx2 v[2:3], v[0:1], off offset:1680
	ds_read_b64 v[5:6], v18 offset:1680
	ds_read_b64 v[7:8], v4 offset:6720
	s_movk_i32 s4, 0x69
	v_cmp_gt_u32_e32 vcc, s4, v12
	s_waitcnt lgkmcnt(0)
	v_add_f32_e32 v9, v5, v7
	v_add_f32_e32 v10, v8, v6
	v_sub_f32_e32 v11, v5, v7
	v_sub_f32_e32 v5, v6, v8
	s_waitcnt vmcnt(0)
	v_fma_f32 v13, v11, v3, v9
	v_fma_f32 v6, v10, v3, v5
	v_fma_f32 v7, -v11, v3, v9
	v_fma_f32 v8, v10, v3, -v5
	v_fma_f32 v5, -v2, v10, v13
	v_fmac_f32_e32 v6, v11, v2
	v_fmac_f32_e32 v7, v2, v10
	;; [unrolled: 1-line block ×3, first 2 shown]
	ds_write_b64 v18, v[5:6] offset:1680
	ds_write_b64 v4, v[7:8] offset:6720
	s_and_saveexec_b64 s[4:5], vcc
	s_cbranch_execz .LBB0_19
; %bb.18:
	global_load_dwordx2 v[0:1], v[0:1], off offset:3360
	ds_read_b64 v[2:3], v18 offset:3360
	ds_read_b64 v[5:6], v4 offset:5040
	s_waitcnt lgkmcnt(0)
	v_add_f32_e32 v7, v2, v5
	v_add_f32_e32 v8, v6, v3
	v_sub_f32_e32 v9, v2, v5
	v_sub_f32_e32 v3, v3, v6
	s_waitcnt vmcnt(0)
	v_fma_f32 v10, v9, v1, v7
	v_fma_f32 v2, v8, v1, v3
	v_fma_f32 v5, -v9, v1, v7
	v_fma_f32 v6, v8, v1, -v3
	v_fma_f32 v1, -v0, v8, v10
	v_fmac_f32_e32 v2, v9, v0
	v_fmac_f32_e32 v5, v0, v8
	;; [unrolled: 1-line block ×3, first 2 shown]
	ds_write_b64 v18, v[1:2] offset:3360
	ds_write_b64 v4, v[5:6] offset:5040
.LBB0_19:
	s_or_b64 exec, exec, s[4:5]
	v_add_u32_e32 v4, 0xc00, v18
	s_waitcnt lgkmcnt(0)
	s_barrier
	s_barrier
	ds_read2_b64 v[0:3], v18 offset1:210
	ds_read2_b64 v[4:7], v4 offset0:36 offset1:141
	v_add_u32_e32 v8, 0x1600, v18
	ds_read2_b64 v[8:11], v8 offset0:31 offset1:241
	v_add_u32_e32 v17, 0xd2, v12
	v_add_u32_e32 v13, v18, v16
	s_waitcnt lgkmcnt(1)
	v_sub_f32_e32 v19, v0, v6
	v_sub_f32_e32 v20, v1, v7
	v_fma_f32 v21, v0, 2.0, -v19
	v_fma_f32 v22, v1, 2.0, -v20
	s_waitcnt lgkmcnt(0)
	v_sub_f32_e32 v0, v2, v8
	v_sub_f32_e32 v1, v3, v9
	v_fma_f32 v8, v2, 2.0, -v0
	v_fma_f32 v9, v3, 2.0, -v1
	v_sub_f32_e32 v2, v4, v10
	v_sub_f32_e32 v3, v5, v11
	v_fma_f32 v6, v4, 2.0, -v2
	v_fma_f32 v7, v5, 2.0, -v3
	v_lshl_add_u32 v4, v17, 4, 0
	s_barrier
	ds_write2_b64 v13, v[21:22], v[19:20] offset1:1
	ds_write2_b64 v4, v[8:9], v[0:1] offset1:1
	s_and_saveexec_b64 s[4:5], vcc
	s_cbranch_execz .LBB0_21
; %bb.20:
	v_lshl_add_u32 v4, v12, 4, 0
	v_add_u32_e32 v4, 0x1a40, v4
	ds_write2_b64 v4, v[6:7], v[2:3] offset1:1
.LBB0_21:
	s_or_b64 exec, exec, s[4:5]
	s_waitcnt lgkmcnt(0)
	s_barrier
	ds_read_b64 v[4:5], v18
	ds_read_b64 v[10:11], v18 offset:2800
	ds_read_b64 v[8:9], v18 offset:5600
	s_movk_i32 s4, 0x8c
	v_cmp_gt_u32_e32 vcc, s4, v12
	s_and_saveexec_b64 s[4:5], vcc
	s_cbranch_execz .LBB0_23
; %bb.22:
	ds_read_b64 v[0:1], v18 offset:1680
	ds_read_b64 v[6:7], v18 offset:4480
	;; [unrolled: 1-line block ×3, first 2 shown]
.LBB0_23:
	s_or_b64 exec, exec, s[4:5]
	v_and_b32_e32 v19, 1, v12
	v_lshlrev_b32_e32 v20, 4, v19
	global_load_dwordx4 v[22:25], v20, s[8:9]
	v_lshrrev_b32_e32 v20, 1, v12
	v_mul_u32_u24_e32 v20, 6, v20
	v_or_b32_e32 v20, v20, v19
	v_lshl_add_u32 v26, v20, 3, 0
	s_waitcnt vmcnt(0) lgkmcnt(0)
	s_barrier
	v_mul_f32_e32 v27, v23, v11
	v_mul_f32_e32 v28, v23, v10
	;; [unrolled: 1-line block ×8, first 2 shown]
	v_fmac_f32_e32 v27, v22, v10
	v_fma_f32 v10, v22, v11, -v28
	v_fmac_f32_e32 v29, v24, v8
	v_fma_f32 v11, v24, v9, -v30
	v_fmac_f32_e32 v20, v6, v22
	v_fma_f32 v6, v7, v22, -v23
	v_fmac_f32_e32 v21, v2, v24
	v_fma_f32 v7, v3, v24, -v25
	v_add_f32_e32 v3, v27, v29
	v_sub_f32_e32 v28, v10, v11
	v_add_f32_e32 v23, v10, v5
	v_add_f32_e32 v10, v10, v11
	;; [unrolled: 1-line block ×6, first 2 shown]
	v_fma_f32 v4, -0.5, v3, v4
	v_fmac_f32_e32 v5, -0.5, v10
	v_fma_f32 v10, -0.5, v24, v0
	v_fma_f32 v11, -0.5, v25, v1
	v_sub_f32_e32 v27, v27, v29
	v_sub_f32_e32 v8, v6, v7
	;; [unrolled: 1-line block ×3, first 2 shown]
	v_add_f32_e32 v22, v2, v29
	v_mov_b32_e32 v24, v4
	v_mov_b32_e32 v25, v5
	;; [unrolled: 1-line block ×4, first 2 shown]
	v_fmac_f32_e32 v24, 0xbf5db3d7, v28
	v_fmac_f32_e32 v25, 0x3f5db3d7, v27
	;; [unrolled: 1-line block ×6, first 2 shown]
	ds_write2_b64 v26, v[22:23], v[24:25] offset1:2
	ds_write_b64 v26, v[4:5] offset:32
	s_and_saveexec_b64 s[4:5], vcc
	s_cbranch_execz .LBB0_25
; %bb.24:
	v_add_f32_e32 v1, v1, v6
	v_lshrrev_b32_e32 v6, 1, v17
	v_mul_u32_u24_e32 v6, 6, v6
	v_mul_f32_e32 v4, 0x3f5db3d7, v8
	v_mul_f32_e32 v5, 0x3f5db3d7, v9
	v_add_f32_e32 v0, v0, v20
	v_or_b32_e32 v6, v6, v19
	v_add_f32_e32 v5, v5, v11
	v_sub_f32_e32 v4, v10, v4
	v_add_f32_e32 v1, v1, v7
	v_add_f32_e32 v0, v0, v21
	v_lshl_add_u32 v6, v6, 3, 0
	ds_write2_b64 v6, v[0:1], v[4:5] offset1:2
	ds_write_b64 v6, v[2:3] offset:32
.LBB0_25:
	s_or_b64 exec, exec, s[4:5]
	s_movk_i32 s4, 0xab
	v_mul_lo_u16_sdwa v0, v12, s4 dst_sel:DWORD dst_unused:UNUSED_PAD src0_sel:BYTE_0 src1_sel:DWORD
	v_lshrrev_b16_e32 v23, 10, v0
	v_mul_lo_u16_e32 v0, 6, v23
	v_sub_u16_e32 v24, v12, v0
	v_mov_b32_e32 v25, 5
	v_lshlrev_b32_sdwa v0, v25, v24 dst_sel:DWORD dst_unused:UNUSED_PAD src0_sel:DWORD src1_sel:BYTE_0
	s_waitcnt lgkmcnt(0)
	s_barrier
	global_load_dwordx4 v[4:7], v0, s[8:9] offset:48
	global_load_dwordx4 v[8:11], v0, s[8:9] offset:32
	v_add_u32_e32 v26, 0x1300, v18
	ds_read2_b64 v[19:22], v26 offset0:22 offset1:232
	v_sub_u32_e32 v13, v13, v16
	ds_read_b64 v[0:1], v13 offset:3360
	ds_read_b64 v[16:17], v18 offset:1680
	s_movk_i32 s4, 0x89
	s_waitcnt vmcnt(1) lgkmcnt(2)
	v_mul_f32_e32 v27, v5, v20
	v_mul_f32_e32 v5, v5, v19
	v_fmac_f32_e32 v27, v4, v19
	v_fma_f32 v19, v4, v20, -v5
	ds_read2_b32 v[4:5], v18 offset1:1
	v_mul_f32_e32 v28, v7, v22
	v_mul_f32_e32 v7, v7, v21
	v_fmac_f32_e32 v28, v6, v21
	v_fma_f32 v20, v6, v22, -v7
	s_waitcnt vmcnt(0) lgkmcnt(1)
	v_mul_f32_e32 v6, v9, v17
	v_mul_f32_e32 v7, v9, v16
	v_mul_f32_e32 v9, v11, v1
	v_mul_f32_e32 v11, v11, v0
	v_fmac_f32_e32 v6, v8, v16
	v_fma_f32 v7, v8, v17, -v7
	v_fmac_f32_e32 v9, v10, v0
	v_fma_f32 v1, v10, v1, -v11
	s_waitcnt lgkmcnt(0)
	v_add_f32_e32 v0, v6, v4
	v_add_f32_e32 v8, v9, v27
	v_sub_f32_e32 v10, v6, v9
	v_sub_f32_e32 v11, v9, v6
	;; [unrolled: 1-line block ×4, first 2 shown]
	v_add_f32_e32 v22, v6, v28
	v_sub_f32_e32 v29, v6, v28
	v_add_f32_e32 v6, v5, v7
	v_add_f32_e32 v31, v1, v19
	v_sub_f32_e32 v16, v9, v27
	v_sub_f32_e32 v30, v1, v19
	v_add_f32_e32 v9, v0, v9
	v_add_f32_e32 v17, v10, v17
	v_fma_f32 v0, -0.5, v8, v4
	v_fma_f32 v4, -0.5, v22, v4
	v_sub_f32_e32 v8, v7, v1
	v_add_f32_e32 v6, v6, v1
	v_sub_f32_e32 v10, v1, v7
	v_add_f32_e32 v21, v11, v21
	;; [unrolled: 2-line block ×3, first 2 shown]
	v_fma_f32 v1, -0.5, v31, v5
	v_sub_f32_e32 v11, v20, v19
	v_add_f32_e32 v31, v8, v11
	v_sub_f32_e32 v8, v19, v20
	v_fmac_f32_e32 v5, -0.5, v7
	v_add_f32_e32 v11, v6, v19
	v_mov_b32_e32 v6, v0
	v_mov_b32_e32 v7, v1
	v_add_f32_e32 v32, v10, v8
	v_add_f32_e32 v10, v9, v27
	v_fmac_f32_e32 v0, 0x3f737871, v22
	v_fmac_f32_e32 v1, 0xbf737871, v29
	v_mov_b32_e32 v9, v5
	v_fmac_f32_e32 v6, 0xbf737871, v22
	v_fmac_f32_e32 v7, 0x3f737871, v29
	v_mov_b32_e32 v8, v4
	v_fmac_f32_e32 v5, 0x3f737871, v16
	v_fmac_f32_e32 v0, 0x3f167918, v30
	;; [unrolled: 1-line block ×6, first 2 shown]
	v_mul_u32_u24_e32 v16, 0xf0, v23
	v_mov_b32_e32 v23, 3
	v_fmac_f32_e32 v4, 0xbf737871, v30
	v_fmac_f32_e32 v8, 0x3f737871, v30
	;; [unrolled: 1-line block ×4, first 2 shown]
	v_lshlrev_b32_sdwa v17, v23, v24 dst_sel:DWORD dst_unused:UNUSED_PAD src0_sel:DWORD src1_sel:BYTE_0
	v_add_f32_e32 v10, v10, v28
	v_add_f32_e32 v11, v11, v20
	v_fmac_f32_e32 v4, 0x3f167918, v22
	v_fmac_f32_e32 v5, 0xbf167918, v29
	;; [unrolled: 1-line block ×5, first 2 shown]
	v_add3_u32 v16, 0, v16, v17
	v_fmac_f32_e32 v4, 0x3e9e377a, v21
	v_fmac_f32_e32 v1, 0x3e9e377a, v31
	;; [unrolled: 1-line block ×5, first 2 shown]
	s_barrier
	ds_write2_b64 v16, v[10:11], v[6:7] offset1:6
	ds_write2_b64 v16, v[8:9], v[4:5] offset0:12 offset1:18
	ds_write_b64 v16, v[0:1] offset:192
	v_mul_lo_u16_sdwa v0, v12, s4 dst_sel:DWORD dst_unused:UNUSED_PAD src0_sel:BYTE_0 src1_sel:DWORD
	v_lshrrev_b16_e32 v24, 12, v0
	v_mul_lo_u16_e32 v0, 30, v24
	v_sub_u16_e32 v27, v12, v0
	v_lshlrev_b32_sdwa v0, v25, v27 dst_sel:DWORD dst_unused:UNUSED_PAD src0_sel:DWORD src1_sel:BYTE_0
	s_waitcnt lgkmcnt(0)
	s_barrier
	global_load_dwordx4 v[4:7], v0, s[8:9] offset:240
	global_load_dwordx4 v[8:11], v0, s[8:9] offset:224
	ds_read2_b64 v[19:22], v26 offset0:22 offset1:232
	ds_read_b64 v[0:1], v13 offset:3360
	ds_read_b64 v[16:17], v18 offset:1680
	s_movk_i32 s4, 0x96
	v_cmp_gt_u32_e32 vcc, s4, v12
	s_waitcnt vmcnt(1) lgkmcnt(2)
	v_mul_f32_e32 v13, v5, v20
	v_mul_f32_e32 v5, v5, v19
	;; [unrolled: 1-line block ×4, first 2 shown]
	v_fmac_f32_e32 v13, v4, v19
	v_fma_f32 v19, v4, v20, -v5
	v_fmac_f32_e32 v25, v6, v21
	v_fma_f32 v20, v6, v22, -v7
	ds_read2_b32 v[6:7], v18 offset1:1
	s_waitcnt vmcnt(0) lgkmcnt(1)
	v_mul_f32_e32 v4, v9, v17
	v_mul_f32_e32 v5, v9, v16
	;; [unrolled: 1-line block ×3, first 2 shown]
	v_fmac_f32_e32 v9, v10, v0
	v_mul_f32_e32 v11, v11, v0
	v_fmac_f32_e32 v4, v8, v16
	v_add_f32_e32 v0, v9, v13
	v_fma_f32 v16, v8, v17, -v5
	v_fma_f32 v17, v10, v1, -v11
	v_add_f32_e32 v10, v4, v25
	s_waitcnt lgkmcnt(0)
	v_fma_f32 v0, -0.5, v0, v6
	v_add_f32_e32 v8, v4, v6
	v_fma_f32 v6, -0.5, v10, v6
	v_sub_f32_e32 v31, v16, v20
	v_mov_b32_e32 v10, v0
	v_sub_f32_e32 v1, v4, v9
	v_sub_f32_e32 v5, v25, v13
	;; [unrolled: 1-line block ×3, first 2 shown]
	v_fmac_f32_e32 v0, 0x3f737871, v31
	v_fmac_f32_e32 v10, 0xbf737871, v31
	v_add_f32_e32 v5, v1, v5
	v_fmac_f32_e32 v0, 0x3f167918, v32
	v_fmac_f32_e32 v10, 0xbf167918, v32
	v_add_f32_e32 v22, v17, v19
	;; [unrolled: 3-line block ×3, first 2 shown]
	v_sub_f32_e32 v11, v9, v4
	v_sub_f32_e32 v30, v4, v25
	v_add_f32_e32 v4, v7, v16
	v_fma_f32 v1, -0.5, v22, v7
	v_fmac_f32_e32 v7, -0.5, v5
	v_sub_f32_e32 v21, v13, v25
	v_sub_f32_e32 v29, v9, v13
	v_add_f32_e32 v8, v8, v9
	v_add_f32_e32 v4, v4, v17
	v_mov_b32_e32 v5, v7
	v_sub_f32_e32 v26, v16, v17
	v_add_f32_e32 v21, v11, v21
	v_add_f32_e32 v8, v8, v13
	;; [unrolled: 1-line block ×3, first 2 shown]
	v_mov_b32_e32 v4, v6
	v_mov_b32_e32 v11, v1
	v_fmac_f32_e32 v5, 0xbf737871, v29
	v_sub_f32_e32 v13, v17, v16
	v_sub_f32_e32 v16, v19, v20
	v_fmac_f32_e32 v7, 0x3f737871, v29
	v_sub_f32_e32 v28, v20, v19
	v_fmac_f32_e32 v6, 0xbf737871, v32
	v_fmac_f32_e32 v1, 0xbf737871, v30
	v_fmac_f32_e32 v4, 0x3f737871, v32
	v_fmac_f32_e32 v11, 0x3f737871, v30
	v_fmac_f32_e32 v5, 0x3f167918, v30
	v_add_f32_e32 v13, v13, v16
	v_fmac_f32_e32 v7, 0xbf167918, v30
	v_add_f32_e32 v22, v26, v28
	v_fmac_f32_e32 v6, 0x3f167918, v31
	v_fmac_f32_e32 v1, 0xbf167918, v29
	;; [unrolled: 1-line block ×6, first 2 shown]
	v_mul_u32_u24_e32 v13, 0x4b0, v24
	v_lshlrev_b32_sdwa v16, v23, v27 dst_sel:DWORD dst_unused:UNUSED_PAD src0_sel:DWORD src1_sel:BYTE_0
	v_add_f32_e32 v8, v8, v25
	v_add_f32_e32 v9, v9, v20
	v_fmac_f32_e32 v6, 0x3e9e377a, v21
	v_fmac_f32_e32 v4, 0x3e9e377a, v21
	;; [unrolled: 1-line block ×4, first 2 shown]
	v_add3_u32 v13, 0, v13, v16
	s_barrier
	ds_write2_b64 v13, v[8:9], v[10:11] offset1:30
	ds_write2_b64 v13, v[4:5], v[6:7] offset0:60 offset1:90
	ds_write_b64 v13, v[0:1] offset:960
	s_waitcnt lgkmcnt(0)
	s_barrier
	s_waitcnt lgkmcnt(0)
                                        ; implicit-def: $vgpr17
	s_and_saveexec_b64 s[4:5], vcc
	s_cbranch_execz .LBB0_27
; %bb.26:
	v_add_u32_e32 v0, 0x800, v18
	ds_read2_b64 v[4:7], v0 offset0:44 offset1:194
	v_add_u32_e32 v0, 0x1000, v18
	ds_read2_b64 v[8:11], v18 offset1:150
	ds_read2_b64 v[0:3], v0 offset0:88 offset1:238
	ds_read_b64 v[16:17], v18 offset:7200
.LBB0_27:
	s_or_b64 exec, exec, s[4:5]
	s_waitcnt lgkmcnt(0)
	s_barrier
	s_and_saveexec_b64 s[4:5], vcc
	s_cbranch_execz .LBB0_29
; %bb.28:
	v_add_u32_e32 v13, 0xffffff6a, v12
	v_cndmask_b32_e32 v13, v13, v12, vcc
	v_mul_i32_i24_e32 v19, 6, v13
	v_mov_b32_e32 v20, 0
	v_lshlrev_b64 v[19:20], 3, v[19:20]
	v_mov_b32_e32 v13, s9
	v_add_co_u32_e32 v31, vcc, s8, v19
	v_addc_co_u32_e32 v32, vcc, v13, v20, vcc
	global_load_dwordx4 v[19:22], v[31:32], off offset:1184
	global_load_dwordx4 v[23:26], v[31:32], off offset:1216
	;; [unrolled: 1-line block ×3, first 2 shown]
	s_mov_b32 s6, 0xbf5ff5aa
	s_mov_b32 s7, 0x3eae86e6
	;; [unrolled: 1-line block ×3, first 2 shown]
	s_waitcnt vmcnt(2)
	v_mul_f32_e32 v13, v11, v20
	s_waitcnt vmcnt(1)
	v_mul_f32_e32 v31, v17, v26
	v_mul_f32_e32 v26, v16, v26
	v_fmac_f32_e32 v31, v16, v25
	v_fma_f32 v16, v17, v25, -v26
	v_mul_f32_e32 v17, v3, v24
	v_mul_f32_e32 v24, v2, v24
	v_fmac_f32_e32 v17, v2, v23
	v_fma_f32 v2, v3, v23, -v24
	s_waitcnt vmcnt(0)
	v_mul_f32_e32 v3, v1, v30
	v_mul_f32_e32 v25, v0, v30
	;; [unrolled: 1-line block ×4, first 2 shown]
	v_fmac_f32_e32 v3, v0, v29
	v_fma_f32 v0, v1, v29, -v25
	v_mul_f32_e32 v1, v10, v20
	v_mul_f32_e32 v20, v6, v28
	;; [unrolled: 1-line block ×3, first 2 shown]
	v_fmac_f32_e32 v13, v10, v19
	v_fmac_f32_e32 v23, v6, v27
	;; [unrolled: 1-line block ×3, first 2 shown]
	v_fma_f32 v1, v11, v19, -v1
	v_fma_f32 v4, v7, v27, -v20
	;; [unrolled: 1-line block ×3, first 2 shown]
	v_sub_f32_e32 v6, v13, v31
	v_sub_f32_e32 v7, v3, v23
	;; [unrolled: 1-line block ×3, first 2 shown]
	v_add_f32_e32 v11, v1, v16
	v_add_f32_e32 v19, v4, v0
	v_add_f32_e32 v20, v5, v2
	v_add_f32_e32 v13, v13, v31
	v_add_f32_e32 v3, v23, v3
	v_add_f32_e32 v17, v24, v17
	v_sub_f32_e32 v16, v1, v16
	v_sub_f32_e32 v0, v0, v4
	;; [unrolled: 1-line block ×5, first 2 shown]
	v_add_f32_e32 v5, v7, v10
	v_sub_f32_e32 v7, v11, v19
	v_add_f32_e32 v22, v20, v11
	v_sub_f32_e32 v23, v13, v3
	;; [unrolled: 2-line block ×3, first 2 shown]
	v_sub_f32_e32 v24, v3, v17
	v_sub_f32_e32 v26, v16, v0
	;; [unrolled: 1-line block ×3, first 2 shown]
	v_add_f32_e32 v0, v0, v4
	v_sub_f32_e32 v10, v10, v6
	v_add_f32_e32 v6, v5, v6
	v_mul_f32_e32 v5, 0x3f4a47b2, v7
	v_add_f32_e32 v19, v19, v22
	v_mul_f32_e32 v22, 0x3f4a47b2, v23
	;; [unrolled: 2-line block ×3, first 2 shown]
	v_mul_f32_e32 v25, 0x3f08b237, v27
	v_add_f32_e32 v27, v0, v16
	v_add_f32_e32 v1, v9, v19
	;; [unrolled: 1-line block ×3, first 2 shown]
	v_mov_b32_e32 v8, v5
	v_mov_b32_e32 v9, v22
	v_mul_f32_e32 v7, 0x3d64c772, v21
	v_mul_f32_e32 v23, 0x3d64c772, v24
	v_fmac_f32_e32 v8, 0x3d64c772, v21
	v_mov_b32_e32 v21, v1
	v_fmac_f32_e32 v9, 0x3d64c772, v24
	v_mov_b32_e32 v24, v0
	v_sub_f32_e32 v16, v4, v16
	v_mul_f32_e32 v29, 0xbf5ff5aa, v10
	v_mov_b32_e32 v30, v28
	v_fmac_f32_e32 v21, 0xbf955555, v19
	v_fmac_f32_e32 v24, 0xbf955555, v3
	v_mul_f32_e32 v4, 0xbf5ff5aa, v16
	v_mov_b32_e32 v31, v25
	v_fma_f32 v29, v2, s7, -v29
	v_fmac_f32_e32 v30, 0xbeae86e6, v2
	v_add_f32_e32 v19, v8, v21
	v_add_f32_e32 v32, v9, v24
	v_sub_f32_e32 v8, v20, v11
	v_sub_f32_e32 v9, v17, v13
	v_fma_f32 v17, v26, s7, -v4
	s_mov_b32 s7, 0x3f3bfb3b
	v_fma_f32 v10, v10, s6, -v28
	v_fmac_f32_e32 v31, 0xbeae86e6, v26
	v_fmac_f32_e32 v30, 0xbee1c552, v6
	;; [unrolled: 1-line block ×3, first 2 shown]
	v_fma_f32 v13, v9, s8, -v22
	v_fma_f32 v7, v8, s7, -v7
	v_fmac_f32_e32 v10, 0xbee1c552, v6
	v_fma_f32 v16, v16, s6, -v25
	v_fma_f32 v6, v9, s7, -v23
	v_fmac_f32_e32 v31, 0xbee1c552, v27
	v_fma_f32 v5, v8, s8, -v5
	v_add_f32_e32 v13, v13, v24
	v_fmac_f32_e32 v17, 0xbee1c552, v27
	v_add_f32_e32 v8, v7, v21
	v_fmac_f32_e32 v16, 0xbee1c552, v27
	v_add_f32_e32 v20, v6, v24
	v_add_f32_e32 v11, v5, v21
	v_sub_f32_e32 v4, v13, v17
	v_sub_f32_e32 v7, v8, v10
	v_add_f32_e32 v6, v16, v20
	v_add_f32_e32 v9, v10, v8
	v_sub_f32_e32 v8, v20, v16
	v_add_f32_e32 v10, v17, v13
	v_sub_f32_e32 v17, v19, v30
	v_add_f32_e32 v16, v31, v32
	v_add_f32_e32 v5, v29, v11
	v_sub_f32_e32 v11, v11, v29
	ds_write2_b64 v18, v[0:1], v[16:17] offset1:150
	v_add_u32_e32 v0, 0x800, v18
	ds_write2_b64 v0, v[10:11], v[8:9] offset0:44 offset1:194
	v_add_u32_e32 v0, 0x1000, v18
	v_add_f32_e32 v3, v30, v19
	v_sub_f32_e32 v2, v32, v31
	ds_write2_b64 v0, v[6:7], v[4:5] offset0:88 offset1:238
	ds_write_b64 v18, v[2:3] offset:7200
.LBB0_29:
	s_or_b64 exec, exec, s[4:5]
	s_waitcnt lgkmcnt(0)
	s_barrier
	s_and_saveexec_b64 s[4:5], s[0:1]
	s_cbranch_execz .LBB0_31
; %bb.30:
	v_lshl_add_u32 v6, v12, 3, 0
	v_mov_b32_e32 v13, 0
	ds_read2_b64 v[0:3], v6 offset1:210
	v_mov_b32_e32 v4, s3
	v_add_co_u32_e32 v7, vcc, s2, v14
	v_addc_co_u32_e32 v8, vcc, v4, v15, vcc
	v_lshlrev_b64 v[4:5], 3, v[12:13]
	v_add_co_u32_e32 v4, vcc, v7, v4
	v_addc_co_u32_e32 v5, vcc, v8, v5, vcc
	s_waitcnt lgkmcnt(0)
	global_store_dwordx2 v[4:5], v[0:1], off
	v_add_u32_e32 v0, 0xd2, v12
	v_mov_b32_e32 v1, v13
	v_lshlrev_b64 v[0:1], 3, v[0:1]
	v_add_u32_e32 v4, 0x1a4, v12
	v_add_co_u32_e32 v0, vcc, v7, v0
	v_addc_co_u32_e32 v1, vcc, v8, v1, vcc
	global_store_dwordx2 v[0:1], v[2:3], off
	v_add_u32_e32 v0, 0xc00, v6
	v_mov_b32_e32 v5, v13
	ds_read2_b64 v[0:3], v0 offset0:36 offset1:246
	v_lshlrev_b64 v[4:5], 3, v[4:5]
	v_add_co_u32_e32 v4, vcc, v7, v4
	v_addc_co_u32_e32 v5, vcc, v8, v5, vcc
	s_waitcnt lgkmcnt(0)
	global_store_dwordx2 v[4:5], v[0:1], off
	v_add_u32_e32 v0, 0x276, v12
	v_mov_b32_e32 v1, v13
	v_lshlrev_b64 v[0:1], 3, v[0:1]
	v_add_u32_e32 v12, 0x348, v12
	v_add_co_u32_e32 v0, vcc, v7, v0
	v_addc_co_u32_e32 v1, vcc, v8, v1, vcc
	global_store_dwordx2 v[0:1], v[2:3], off
	ds_read_b64 v[0:1], v6 offset:6720
	v_lshlrev_b64 v[2:3], 3, v[12:13]
	v_add_co_u32_e32 v2, vcc, v7, v2
	v_addc_co_u32_e32 v3, vcc, v8, v3, vcc
	s_waitcnt lgkmcnt(0)
	global_store_dwordx2 v[2:3], v[0:1], off
.LBB0_31:
	s_endpgm
	.section	.rodata,"a",@progbits
	.p2align	6, 0x0
	.amdhsa_kernel fft_rtc_back_len1050_factors_2_3_5_5_7_wgs_210_tpt_210_sp_ip_CI_unitstride_sbrr_C2R_dirReg
		.amdhsa_group_segment_fixed_size 0
		.amdhsa_private_segment_fixed_size 0
		.amdhsa_kernarg_size 88
		.amdhsa_user_sgpr_count 6
		.amdhsa_user_sgpr_private_segment_buffer 1
		.amdhsa_user_sgpr_dispatch_ptr 0
		.amdhsa_user_sgpr_queue_ptr 0
		.amdhsa_user_sgpr_kernarg_segment_ptr 1
		.amdhsa_user_sgpr_dispatch_id 0
		.amdhsa_user_sgpr_flat_scratch_init 0
		.amdhsa_user_sgpr_private_segment_size 0
		.amdhsa_uses_dynamic_stack 0
		.amdhsa_system_sgpr_private_segment_wavefront_offset 0
		.amdhsa_system_sgpr_workgroup_id_x 1
		.amdhsa_system_sgpr_workgroup_id_y 0
		.amdhsa_system_sgpr_workgroup_id_z 0
		.amdhsa_system_sgpr_workgroup_info 0
		.amdhsa_system_vgpr_workitem_id 0
		.amdhsa_next_free_vgpr 33
		.amdhsa_next_free_sgpr 22
		.amdhsa_reserve_vcc 1
		.amdhsa_reserve_flat_scratch 0
		.amdhsa_float_round_mode_32 0
		.amdhsa_float_round_mode_16_64 0
		.amdhsa_float_denorm_mode_32 3
		.amdhsa_float_denorm_mode_16_64 3
		.amdhsa_dx10_clamp 1
		.amdhsa_ieee_mode 1
		.amdhsa_fp16_overflow 0
		.amdhsa_exception_fp_ieee_invalid_op 0
		.amdhsa_exception_fp_denorm_src 0
		.amdhsa_exception_fp_ieee_div_zero 0
		.amdhsa_exception_fp_ieee_overflow 0
		.amdhsa_exception_fp_ieee_underflow 0
		.amdhsa_exception_fp_ieee_inexact 0
		.amdhsa_exception_int_div_zero 0
	.end_amdhsa_kernel
	.text
.Lfunc_end0:
	.size	fft_rtc_back_len1050_factors_2_3_5_5_7_wgs_210_tpt_210_sp_ip_CI_unitstride_sbrr_C2R_dirReg, .Lfunc_end0-fft_rtc_back_len1050_factors_2_3_5_5_7_wgs_210_tpt_210_sp_ip_CI_unitstride_sbrr_C2R_dirReg
                                        ; -- End function
	.section	.AMDGPU.csdata,"",@progbits
; Kernel info:
; codeLenInByte = 4792
; NumSgprs: 26
; NumVgprs: 33
; ScratchSize: 0
; MemoryBound: 0
; FloatMode: 240
; IeeeMode: 1
; LDSByteSize: 0 bytes/workgroup (compile time only)
; SGPRBlocks: 3
; VGPRBlocks: 8
; NumSGPRsForWavesPerEU: 26
; NumVGPRsForWavesPerEU: 33
; Occupancy: 7
; WaveLimiterHint : 1
; COMPUTE_PGM_RSRC2:SCRATCH_EN: 0
; COMPUTE_PGM_RSRC2:USER_SGPR: 6
; COMPUTE_PGM_RSRC2:TRAP_HANDLER: 0
; COMPUTE_PGM_RSRC2:TGID_X_EN: 1
; COMPUTE_PGM_RSRC2:TGID_Y_EN: 0
; COMPUTE_PGM_RSRC2:TGID_Z_EN: 0
; COMPUTE_PGM_RSRC2:TIDIG_COMP_CNT: 0
	.type	__hip_cuid_fa2659de33f3f650,@object ; @__hip_cuid_fa2659de33f3f650
	.section	.bss,"aw",@nobits
	.globl	__hip_cuid_fa2659de33f3f650
__hip_cuid_fa2659de33f3f650:
	.byte	0                               ; 0x0
	.size	__hip_cuid_fa2659de33f3f650, 1

	.ident	"AMD clang version 19.0.0git (https://github.com/RadeonOpenCompute/llvm-project roc-6.4.0 25133 c7fe45cf4b819c5991fe208aaa96edf142730f1d)"
	.section	".note.GNU-stack","",@progbits
	.addrsig
	.addrsig_sym __hip_cuid_fa2659de33f3f650
	.amdgpu_metadata
---
amdhsa.kernels:
  - .args:
      - .actual_access:  read_only
        .address_space:  global
        .offset:         0
        .size:           8
        .value_kind:     global_buffer
      - .offset:         8
        .size:           8
        .value_kind:     by_value
      - .actual_access:  read_only
        .address_space:  global
        .offset:         16
        .size:           8
        .value_kind:     global_buffer
      - .actual_access:  read_only
        .address_space:  global
        .offset:         24
        .size:           8
        .value_kind:     global_buffer
      - .offset:         32
        .size:           8
        .value_kind:     by_value
      - .actual_access:  read_only
        .address_space:  global
        .offset:         40
        .size:           8
        .value_kind:     global_buffer
      - .actual_access:  read_only
        .address_space:  global
        .offset:         48
        .size:           8
        .value_kind:     global_buffer
      - .offset:         56
        .size:           4
        .value_kind:     by_value
      - .actual_access:  read_only
        .address_space:  global
        .offset:         64
        .size:           8
        .value_kind:     global_buffer
      - .actual_access:  read_only
        .address_space:  global
        .offset:         72
        .size:           8
        .value_kind:     global_buffer
      - .address_space:  global
        .offset:         80
        .size:           8
        .value_kind:     global_buffer
    .group_segment_fixed_size: 0
    .kernarg_segment_align: 8
    .kernarg_segment_size: 88
    .language:       OpenCL C
    .language_version:
      - 2
      - 0
    .max_flat_workgroup_size: 210
    .name:           fft_rtc_back_len1050_factors_2_3_5_5_7_wgs_210_tpt_210_sp_ip_CI_unitstride_sbrr_C2R_dirReg
    .private_segment_fixed_size: 0
    .sgpr_count:     26
    .sgpr_spill_count: 0
    .symbol:         fft_rtc_back_len1050_factors_2_3_5_5_7_wgs_210_tpt_210_sp_ip_CI_unitstride_sbrr_C2R_dirReg.kd
    .uniform_work_group_size: 1
    .uses_dynamic_stack: false
    .vgpr_count:     33
    .vgpr_spill_count: 0
    .wavefront_size: 64
amdhsa.target:   amdgcn-amd-amdhsa--gfx906
amdhsa.version:
  - 1
  - 2
...

	.end_amdgpu_metadata
